;; amdgpu-corpus repo=triton-lang/triton kind=triton arch=gfx1201 opt=O3 lang=triton
	.amdgcn_target "amdgcn-amd-amdhsa--gfx1201"
	.amdhsa_code_object_version 5
	.text
	.globl	softmax_kernel                  ; -- Begin function softmax_kernel
	.p2align	8
	.type	softmax_kernel,@function
softmax_kernel:                         ; @softmax_kernel
.Lfunc_begin0:
	.file	1 "/root/src/amdgpu-assembly/repos/triton-lang__triton-aot" "softmax.py"
	.loc	1 7 0                           ; softmax.py:7:0
	.cfi_sections .debug_frame
	.cfi_startproc
; %bb.0:
	s_clause 0x1
	s_load_b96 s[4:6], s[0:1], 0x8
	s_load_b32 s12, s[0:1], 0x1c
.Ltmp0:
	.loc	1 11 31 prologue_end            ; softmax.py:11:31
	v_and_b32_e32 v8, 31, v0
.Ltmp1:
	.file	2 "/root/.local/lib/python3.13/site-packages/triton/language" "standard.py"
	.loc	2 293 36                        ; standard.py:293:36 @[ softmax.py:17:25 ]
	s_bfe_u32 s13, ttmp8, 0x50019
	s_mov_b32 s11, 0x31027000
.Ltmp2:
	.loc	1 11 31                         ; softmax.py:11:31
	s_lshl_b32 s2, s13, 5
	s_mov_b32 s10, 0x7ffffffe
	v_and_or_b32 v1, 0x60, s2, v8
	s_delay_alu instid0(VALU_DEP_1) | instskip(SKIP_3) | instid1(VALU_DEP_4)
	v_or_b32_e32 v2, 0x80, v1
	v_or_b32_e32 v3, 0x100, v1
	;; [unrolled: 1-line block ×3, first 2 shown]
	.loc	1 14 18                         ; softmax.py:14:18
	v_lshlrev_b32_e32 v5, 1, v1
	v_lshlrev_b32_e32 v6, 1, v2
	s_delay_alu instid0(VALU_DEP_3)
	v_lshlrev_b32_e32 v9, 1, v4
	.loc	1 10 42                         ; softmax.py:10:42
	s_wait_kmcnt 0x0
	s_mul_i32 s2, s6, ttmp9
	.loc	1 13 25                         ; softmax.py:13:25
	v_cmp_gt_i32_e32 vcc_lo, s12, v1
	.loc	1 10 32                         ; softmax.py:10:32
	s_wait_alu depctr_sa_sdst(0)
	s_ashr_i32 s3, s2, 31
	.loc	1 14 18                         ; softmax.py:14:18
	v_lshlrev_b32_e32 v7, 1, v3
	.loc	1 10 32                         ; softmax.py:10:32
	s_wait_alu depctr_sa_sdst(0)
	s_lshl_b64 s[6:7], s[2:3], 1
	.loc	1 13 25                         ; softmax.py:13:25
	v_cmp_gt_i32_e64 s2, s12, v2
	v_cmp_gt_i32_e64 s3, s12, v3
	.loc	1 10 32                         ; softmax.py:10:32
	s_add_nc_u64 s[8:9], s[4:5], s[6:7]
	.loc	1 13 25                         ; softmax.py:13:25
	v_cmp_gt_i32_e64 s4, s12, v4
	.loc	1 14 18                         ; softmax.py:14:18
	v_cndmask_b32_e32 v1, 0x80000000, v5, vcc_lo
	s_wait_alu depctr_va_sdst(0)
	v_cndmask_b32_e64 v2, 0x80000000, v6, s2
	v_cndmask_b32_e64 v3, 0x80000000, v7, s3
	s_and_b32 s9, s9, 0xffff
	v_cndmask_b32_e64 v4, 0x80000000, v9, s4
	s_clause 0x3
	buffer_load_u16 v5, v1, s[8:11], null offen
	buffer_load_u16 v6, v2, s[8:11], null offen
	;; [unrolled: 1-line block ×4, first 2 shown]
.Ltmp3:
	.loc	2 187 33                        ; standard.py:187:33 @[ softmax.py:15:33 ]
	s_wait_loadcnt 0x3
	v_cvt_f32_f16_e32 v5, v5
	s_wait_loadcnt 0x2
	v_cvt_f32_f16_e32 v10, v6
	;; [unrolled: 2-line block ×4, first 2 shown]
.Ltmp4:
	.loc	1 14 18                         ; softmax.py:14:18
	v_cndmask_b32_e32 v6, 0xff800000, v5, vcc_lo
	v_cndmask_b32_e64 v7, 0xff800000, v10, s2
	v_cndmask_b32_e64 v10, 0xff800000, v11, s3
	s_delay_alu instid0(VALU_DEP_4)
	v_cndmask_b32_e64 v5, 0xff800000, v9, s4
.Ltmp5:
	.loc	2 191 40                        ; standard.py:191:40 @[ softmax.py:15:33 ]
	v_cmp_eq_u32_e32 vcc_lo, 0, v8
	s_and_b32 s3, s13, 3
.Ltmp6:
	.loc	2 170 27                        ; standard.py:170:27 @[ standard.py:191:40 @[ softmax.py:15:33 ] ]
	v_max_num_f32_e32 v9, v6, v7
.Ltmp7:
	.loc	2 191 40                        ; standard.py:191:40 @[ softmax.py:15:33 ]
	s_wait_alu depctr_sa_sdst(0)
	s_lshl2_add_u32 s7, s3, 0
	s_delay_alu instid0(VALU_DEP_1) | instskip(NEXT) | instid1(VALU_DEP_1)
.Ltmp8:
	.loc	2 170 27                        ; standard.py:170:27 @[ standard.py:191:40 @[ softmax.py:15:33 ] ]
	v_max3_num_f32 v9, v9, v10, v5
.Ltmp9:
	.loc	2 191 40                        ; standard.py:191:40 @[ softmax.py:15:33 ]
	v_mov_b32_dpp v11, v9 row_shr:8 row_mask:0xf bank_mask:0xf bound_ctrl:1
	s_delay_alu instid0(VALU_DEP_1) | instskip(NEXT) | instid1(VALU_DEP_1)
.Ltmp10:
	.loc	2 170 27                        ; standard.py:170:27 @[ standard.py:191:40 @[ softmax.py:15:33 ] ]
	v_max_num_f32_e32 v11, v11, v11
	v_max_num_f32_e32 v9, v9, v11
	s_delay_alu instid0(VALU_DEP_1) | instskip(NEXT) | instid1(VALU_DEP_1)
.Ltmp11:
	.loc	2 191 40                        ; standard.py:191:40 @[ softmax.py:15:33 ]
	v_mov_b32_dpp v11, v9 row_shr:4 row_mask:0xf bank_mask:0xf bound_ctrl:1
.Ltmp12:
	.loc	2 170 27                        ; standard.py:170:27 @[ standard.py:191:40 @[ softmax.py:15:33 ] ]
	v_max_num_f32_e32 v11, v11, v11
	s_delay_alu instid0(VALU_DEP_1) | instskip(NEXT) | instid1(VALU_DEP_1)
	v_max_num_f32_e32 v9, v9, v11
.Ltmp13:
	.loc	2 191 40                        ; standard.py:191:40 @[ softmax.py:15:33 ]
	v_mov_b32_dpp v11, v9 row_shr:2 row_mask:0xf bank_mask:0xf bound_ctrl:1
	s_delay_alu instid0(VALU_DEP_1) | instskip(NEXT) | instid1(VALU_DEP_1)
.Ltmp14:
	.loc	2 170 27                        ; standard.py:170:27 @[ standard.py:191:40 @[ softmax.py:15:33 ] ]
	v_max_num_f32_e32 v11, v11, v11
	v_max_num_f32_e32 v9, v9, v11
	s_delay_alu instid0(VALU_DEP_1) | instskip(NEXT) | instid1(VALU_DEP_1)
.Ltmp15:
	.loc	2 191 40                        ; standard.py:191:40 @[ softmax.py:15:33 ]
	v_mov_b32_dpp v11, v9 row_shr:1 row_mask:0xf bank_mask:0xf bound_ctrl:1
.Ltmp16:
	.loc	2 170 27                        ; standard.py:170:27 @[ standard.py:191:40 @[ softmax.py:15:33 ] ]
	v_max_num_f32_e32 v11, v11, v11
	s_delay_alu instid0(VALU_DEP_1) | instskip(NEXT) | instid1(VALU_DEP_1)
	v_max_num_f32_e32 v9, v9, v11
.Ltmp17:
	.loc	2 191 40                        ; standard.py:191:40 @[ softmax.py:15:33 ]
	v_permlanex16_b32 v11, v9, -1, -1 op_sel:[1,0]
	s_delay_alu instid0(VALU_DEP_1) | instskip(NEXT) | instid1(VALU_DEP_1)
.Ltmp18:
	.loc	2 170 27                        ; standard.py:170:27 @[ standard.py:191:40 @[ softmax.py:15:33 ] ]
	v_max_num_f32_e32 v11, v11, v11
	v_max_num_f32_e32 v9, v9, v11
	s_delay_alu instid0(VALU_DEP_1)
.Ltmp19:
	.loc	2 191 40                        ; standard.py:191:40 @[ softmax.py:15:33 ]
	v_readlane_b32 s2, v9, 31
	s_and_saveexec_b32 s3, vcc_lo
; %bb.1:
	s_wait_alu depctr_va_sdst(0)
	v_dual_mov_b32 v8, s7 :: v_dual_mov_b32 v9, s2
	ds_store_b32 v8, v9
; %bb.2:
	.loc	2 0 40 is_stmt 0                ; standard.py:0:40
	s_wait_alu depctr_sa_sdst(0)
	s_or_b32 exec_lo, exec_lo, s3
	.loc	2 191 40                        ; standard.py:191:40 @[ softmax.py:15:33 ]
	s_wait_dscnt 0x0
	s_barrier_signal -1
	v_cmp_gt_u32_e64 s2, 4, v0
	v_lshl_add_u32 v8, v0, 2, 0
	v_mov_b32_e32 v9, 0
	s_barrier_wait -1
	global_inv scope:SCOPE_SE
	s_and_saveexec_b32 s3, s2
; %bb.3:
	ds_load_b32 v9, v8
; %bb.4:
	.loc	2 0 40                          ; standard.py:0:40
	s_wait_alu depctr_sa_sdst(0)
	s_or_b32 exec_lo, exec_lo, s3
.Ltmp20:
	.loc	2 170 27 is_stmt 1              ; standard.py:170:27 @[ standard.py:191:40 @[ softmax.py:15:33 ] ]
	s_wait_dscnt 0x0
	v_max_num_f32_e32 v11, v9, v9
.Ltmp21:
	.loc	2 191 40                        ; standard.py:191:40 @[ softmax.py:15:33 ]
	v_mov_b32_dpp v9, v9 quad_perm:[2,3,0,1] row_mask:0xf bank_mask:0xf
	s_delay_alu instid0(VALU_DEP_1) | instskip(NEXT) | instid1(VALU_DEP_1)
.Ltmp22:
	.loc	2 170 27                        ; standard.py:170:27 @[ standard.py:191:40 @[ softmax.py:15:33 ] ]
	v_max_num_f32_e32 v9, v9, v9
	v_max_num_f32_e32 v9, v11, v9
	s_delay_alu instid0(VALU_DEP_1) | instskip(NEXT) | instid1(VALU_DEP_1)
.Ltmp23:
	.loc	2 191 40                        ; standard.py:191:40 @[ softmax.py:15:33 ]
	v_dual_mov_b32 v0, v9 :: v_dual_and_b32 v11, 3, v0
	v_cmp_eq_u32_e64 s3, 0, v11
	s_delay_alu instid0(VALU_DEP_2) | instskip(SKIP_1) | instid1(SALU_CYCLE_1)
	v_mov_b32_dpp v0, v0 quad_perm:[1,0,3,2] row_mask:0xf bank_mask:0xf
	s_and_b32 s8, s2, s3
	s_and_saveexec_b32 s3, s8
; %bb.5:
	.loc	2 0 40 is_stmt 0                ; standard.py:0:40
	s_delay_alu instid0(VALU_DEP_1) | instskip(NEXT) | instid1(VALU_DEP_1)
	v_dual_max_num_f32 v0, v0, v0 :: v_dual_max_num_f32 v9, v9, v9
	v_max_num_f32_e32 v0, v9, v0
	.loc	2 191 40                        ; standard.py:191:40 @[ softmax.py:15:33 ]
	ds_store_b32 v8, v0
; %bb.6:
	.loc	2 0 40                          ; standard.py:0:40
	s_wait_alu depctr_sa_sdst(0)
	s_or_b32 exec_lo, exec_lo, s3
	.loc	2 191 40                        ; standard.py:191:40 @[ softmax.py:15:33 ]
	s_wait_loadcnt_dscnt 0x0
	s_barrier_signal -1
	v_mov_b32_e32 v9, 0
	s_barrier_wait -1
	global_inv scope:SCOPE_SE
	ds_load_b32 v0, v9
.Ltmp24:
	.loc	1 15 26 is_stmt 1               ; softmax.py:15:26
	s_wait_dscnt 0x0
	v_sub_f32_e32 v6, v6, v0
	v_sub_f32_e32 v7, v7, v0
	s_delay_alu instid0(VALU_DEP_2) | instskip(NEXT) | instid1(VALU_DEP_2)
	v_dual_sub_f32 v10, v10, v0 :: v_dual_mul_f32 v11, 0x3fb8aa3b, v6
	.loc	1 16 23                         ; softmax.py:16:23
	v_mul_f32_e32 v12, 0x3fb8aa3b, v7
	s_delay_alu instid0(VALU_DEP_2) | instskip(SKIP_1) | instid1(VALU_DEP_1)
	v_cmp_gt_f32_e64 s3, 0xc2fc0000, v11
	s_wait_alu depctr_va_sdst(0)
	v_cndmask_b32_e64 v11, 0, 0x42800000, s3
	.loc	1 15 26                         ; softmax.py:15:26
	v_dual_sub_f32 v0, v5, v0 :: v_dual_mul_f32 v5, 0x3fb8aa3b, v10
	.loc	1 16 23                         ; softmax.py:16:23
	v_cmp_gt_f32_e64 s4, 0xc2fc0000, v12
	s_delay_alu instid0(VALU_DEP_3) | instskip(NEXT) | instid1(VALU_DEP_3)
	v_fmac_f32_e32 v11, 0x3fb8aa3b, v6
	v_cmp_gt_f32_e64 s5, 0xc2fc0000, v5
	s_wait_alu depctr_va_sdst(0)
	s_delay_alu instid0(VALU_DEP_3) | instskip(SKIP_1) | instid1(VALU_DEP_3)
	v_cndmask_b32_e64 v12, 0, 0x42800000, s4
	v_mul_f32_e32 v13, 0x3fb8aa3b, v0
	v_cndmask_b32_e64 v5, 0, 0x42800000, s5
	s_delay_alu instid0(VALU_DEP_3) | instskip(NEXT) | instid1(VALU_DEP_3)
	v_fmac_f32_e32 v12, 0x3fb8aa3b, v7
	v_cmp_gt_f32_e64 s6, 0xc2fc0000, v13
	v_exp_f32_e32 v7, v11
	v_cndmask_b32_e64 v11, 0, 0xffffffc0, s3
	v_cndmask_b32_e64 v13, 0, 0xffffffc0, s5
	s_wait_alu depctr_va_sdst(0)
	v_cndmask_b32_e64 v6, 0, 0x42800000, s6
	v_fmac_f32_e32 v5, 0x3fb8aa3b, v10
	v_exp_f32_e32 v10, v12
	s_delay_alu instid0(VALU_DEP_2) | instskip(NEXT) | instid1(VALU_DEP_2)
	v_fmac_f32_e32 v6, 0x3fb8aa3b, v0
	v_exp_f32_e32 v12, v5
	v_cndmask_b32_e64 v5, 0, 0xffffffc0, s4
	v_ldexp_f32 v0, v7, v11
	v_cndmask_b32_e64 v7, 0, 0xffffffc0, s6
	v_exp_f32_e32 v14, v6
	s_delay_alu instid0(TRANS32_DEP_3) | instid1(VALU_DEP_3)
	v_ldexp_f32 v5, v10, v5
	s_delay_alu instid0(TRANS32_DEP_2) | instskip(NEXT) | instid1(VALU_DEP_2)
	v_ldexp_f32 v6, v12, v13
.Ltmp25:
	.loc	2 263 15                        ; standard.py:263:15 @[ standard.py:293:36 @[ softmax.py:17:25 ] ]
	v_add_f32_e32 v10, v0, v5
	s_delay_alu instid0(TRANS32_DEP_1) | instskip(NEXT) | instid1(VALU_DEP_2)
.Ltmp26:
	.loc	1 16 23                         ; softmax.py:16:23
	v_ldexp_f32 v7, v14, v7
.Ltmp27:
	.loc	2 263 15                        ; standard.py:263:15 @[ standard.py:293:36 @[ softmax.py:17:25 ] ]
	v_add_f32_e32 v10, v6, v10
	s_delay_alu instid0(VALU_DEP_1) | instskip(NEXT) | instid1(VALU_DEP_1)
	v_add_f32_e32 v10, v7, v10
	v_add_f32_dpp v10, v10, v10 row_shr:8 row_mask:0xf bank_mask:0xf bound_ctrl:1
	s_delay_alu instid0(VALU_DEP_1) | instskip(NEXT) | instid1(VALU_DEP_1)
	v_add_f32_dpp v10, v10, v10 row_shr:4 row_mask:0xf bank_mask:0xf bound_ctrl:1
	v_add_f32_dpp v10, v10, v10 row_shr:2 row_mask:0xf bank_mask:0xf bound_ctrl:1
	s_delay_alu instid0(VALU_DEP_1) | instskip(NEXT) | instid1(VALU_DEP_1)
	v_add_f32_dpp v10, v10, v10 row_shr:1 row_mask:0xf bank_mask:0xf bound_ctrl:1
.Ltmp28:
	.loc	2 293 36                        ; standard.py:293:36 @[ softmax.py:17:25 ]
	v_permlanex16_b32 v11, v10, -1, -1 op_sel:[1,0]
	s_delay_alu instid0(VALU_DEP_1) | instskip(NEXT) | instid1(VALU_DEP_1)
.Ltmp29:
	.loc	2 263 15                        ; standard.py:263:15 @[ standard.py:293:36 @[ softmax.py:17:25 ] ]
	v_add_f32_e32 v10, v10, v11
.Ltmp30:
	.loc	2 293 36                        ; standard.py:293:36 @[ softmax.py:17:25 ]
	v_readlane_b32 s4, v10, 31
	s_wait_loadcnt 0x0
	s_barrier_signal -1
	s_barrier_wait -1
	global_inv scope:SCOPE_SE
	s_and_saveexec_b32 s3, vcc_lo
; %bb.7:
	s_wait_alu depctr_va_sdst(0)
	v_dual_mov_b32 v10, s7 :: v_dual_mov_b32 v11, s4
	ds_store_b32 v10, v11
; %bb.8:
	.loc	2 0 36 is_stmt 0                ; standard.py:0:36
	s_wait_alu depctr_sa_sdst(0)
	s_or_b32 exec_lo, exec_lo, s3
	.loc	2 293 36                        ; standard.py:293:36 @[ softmax.py:17:25 ]
	s_wait_loadcnt_dscnt 0x0
	s_barrier_signal -1
	s_barrier_wait -1
	global_inv scope:SCOPE_SE
	s_and_saveexec_b32 s3, s2
; %bb.9:
	ds_load_b32 v9, v8
; %bb.10:
	.loc	2 0 36                          ; standard.py:0:36
	s_wait_alu depctr_sa_sdst(0)
	s_or_b32 exec_lo, exec_lo, s3
	.loc	2 293 36                        ; standard.py:293:36 @[ softmax.py:17:25 ]
	s_wait_dscnt 0x0
	v_mov_b32_e32 v10, v9
	s_clause 0x1
	s_load_b64 s[4:5], s[0:1], 0x0
	s_load_b32 s3, s[0:1], 0x14
	s_delay_alu instid0(VALU_DEP_1) | instskip(NEXT) | instid1(VALU_DEP_1)
	v_mov_b32_dpp v10, v10 quad_perm:[2,3,0,1] row_mask:0xf bank_mask:0xf
.Ltmp31:
	.loc	2 263 15 is_stmt 1              ; standard.py:263:15 @[ standard.py:293:36 @[ softmax.py:17:25 ] ]
	v_add_f32_e32 v9, v9, v10
	s_delay_alu instid0(VALU_DEP_1) | instskip(NEXT) | instid1(VALU_DEP_1)
.Ltmp32:
	.loc	2 293 36                        ; standard.py:293:36 @[ softmax.py:17:25 ]
	v_mov_b32_e32 v10, v9
	v_mov_b32_dpp v10, v10 quad_perm:[1,0,3,2] row_mask:0xf bank_mask:0xf
	s_and_saveexec_b32 s0, s8
; %bb.11:
	.loc	2 0 36 is_stmt 0                ; standard.py:0:36
	s_delay_alu instid0(VALU_DEP_1)
	v_add_f32_e32 v9, v9, v10
	.loc	2 293 36                        ; standard.py:293:36 @[ softmax.py:17:25 ]
	ds_store_b32 v8, v9
; %bb.12:
	.loc	2 0 36                          ; standard.py:0:36
	s_or_b32 exec_lo, exec_lo, s0
	.loc	2 293 36                        ; standard.py:293:36 @[ softmax.py:17:25 ]
	s_wait_loadcnt_dscnt 0x0
	s_barrier_signal -1
	v_mov_b32_e32 v8, 0
.Ltmp33:
	.loc	1 19 50 is_stmt 1               ; softmax.py:19:50
	s_wait_kmcnt 0x0
	s_mul_i32 s6, s3, ttmp9
	s_mov_b32 s3, 0x31027000
	.loc	1 19 40 is_stmt 0               ; softmax.py:19:40
	s_wait_alu depctr_sa_sdst(0)
	s_ashr_i32 s7, s6, 31
	s_wait_alu depctr_sa_sdst(0)
	s_lshl_b64 s[6:7], s[6:7], 1
.Ltmp34:
	.loc	2 293 36 is_stmt 1              ; standard.py:293:36 @[ softmax.py:17:25 ]
	s_barrier_wait -1
	global_inv scope:SCOPE_SE
	ds_load_b32 v8, v8
.Ltmp35:
	.loc	1 18 33                         ; softmax.py:18:33
	s_wait_dscnt 0x0
	v_div_scale_f32 v10, null, v8, v8, v5
	v_div_scale_f32 v9, null, v8, v8, v0
	;; [unrolled: 1-line block ×4, first 2 shown]
	s_delay_alu instid0(VALU_DEP_4) | instskip(NEXT) | instid1(VALU_DEP_3)
	v_rcp_f32_e32 v14, v10
	v_rcp_f32_e32 v13, v9
	s_delay_alu instid0(VALU_DEP_2) | instskip(NEXT) | instid1(VALU_DEP_1)
	v_rcp_f32_e32 v15, v11
	v_rcp_f32_e32 v16, v12
	v_div_scale_f32 v18, s0, v5, v8, v5
	v_div_scale_f32 v17, vcc_lo, v0, v8, v0
	v_div_scale_f32 v19, s1, v6, v8, v6
	v_fma_f32 v21, -v10, v14, 1.0
	s_delay_alu instid0(TRANS32_DEP_3) | instskip(NEXT) | instid1(TRANS32_DEP_2)
	v_fma_f32 v20, -v9, v13, 1.0
	v_fma_f32 v22, -v11, v15, 1.0
	s_delay_alu instid0(TRANS32_DEP_1) | instskip(SKIP_1) | instid1(VALU_DEP_3)
	v_fma_f32 v23, -v12, v16, 1.0
	v_div_scale_f32 v24, s2, v7, v8, v7
	v_dual_fmac_f32 v14, v21, v14 :: v_dual_fmac_f32 v15, v22, v15
	s_delay_alu instid0(VALU_DEP_3) | instskip(NEXT) | instid1(VALU_DEP_1)
	v_dual_fmac_f32 v13, v20, v13 :: v_dual_fmac_f32 v16, v23, v16
	v_dual_mul_f32 v21, v18, v14 :: v_dual_mul_f32 v20, v17, v13
	s_delay_alu instid0(VALU_DEP_2) | instskip(NEXT) | instid1(VALU_DEP_2)
	v_mul_f32_e32 v23, v24, v16
	v_fma_f32 v26, -v10, v21, v18
	v_mul_f32_e32 v22, v19, v15
	s_delay_alu instid0(VALU_DEP_4) | instskip(NEXT) | instid1(VALU_DEP_4)
	v_fma_f32 v25, -v9, v20, v17
	v_fma_f32 v28, -v12, v23, v24
	s_delay_alu instid0(VALU_DEP_4) | instskip(NEXT) | instid1(VALU_DEP_4)
	v_fmac_f32_e32 v21, v26, v14
	v_fma_f32 v27, -v11, v22, v19
	s_delay_alu instid0(VALU_DEP_3) | instskip(NEXT) | instid1(VALU_DEP_3)
	v_dual_fmac_f32 v20, v25, v13 :: v_dual_fmac_f32 v23, v28, v16
	v_fma_f32 v10, -v10, v21, v18
	s_delay_alu instid0(VALU_DEP_3) | instskip(NEXT) | instid1(VALU_DEP_3)
	v_fmac_f32_e32 v22, v27, v15
	v_fma_f32 v9, -v9, v20, v17
	s_delay_alu instid0(VALU_DEP_4) | instskip(NEXT) | instid1(VALU_DEP_3)
	v_fma_f32 v12, -v12, v23, v24
	v_fma_f32 v11, -v11, v22, v19
	s_wait_alu depctr_va_vcc(0)
	s_delay_alu instid0(VALU_DEP_3)
	v_div_fmas_f32 v9, v9, v13, v20
	s_mov_b32 vcc_lo, s0
	s_wait_alu depctr_sa_sdst(0)
	v_div_fmas_f32 v10, v10, v14, v21
	s_mov_b32 vcc_lo, s1
	v_div_fixup_f32 v0, v9, v8, v0
	s_wait_alu depctr_sa_sdst(0)
	v_div_fmas_f32 v11, v11, v15, v22
	s_mov_b32 vcc_lo, s2
	v_div_fixup_f32 v5, v10, v8, v5
	s_wait_alu depctr_sa_sdst(0)
	v_div_fmas_f32 v12, v12, v16, v23
	.loc	1 21 26                         ; softmax.py:21:26
	v_cvt_f16_f32_e32 v0, v0
	.loc	1 18 33                         ; softmax.py:18:33
	v_div_fixup_f32 v6, v11, v8, v6
	.loc	1 19 40                         ; softmax.py:19:40
	s_add_nc_u64 s[0:1], s[4:5], s[6:7]
	.loc	1 21 26                         ; softmax.py:21:26
	v_cvt_f16_f32_e32 v5, v5
	.loc	1 18 33                         ; softmax.py:18:33
	v_div_fixup_f32 v7, v12, v8, v7
	.loc	1 21 26                         ; softmax.py:21:26
	s_and_b32 s1, s1, 0xffff
	v_cvt_f16_f32_e32 v6, v6
	s_mov_b32 s2, 0x7ffffffe
	s_delay_alu instid0(VALU_DEP_2)
	v_cvt_f16_f32_e32 v7, v7
	s_clause 0x3
	buffer_store_b16 v0, v1, s[0:3], null offen
	buffer_store_b16 v5, v2, s[0:3], null offen
	;; [unrolled: 1-line block ×4, first 2 shown]
	.loc	1 21 4 is_stmt 0                ; softmax.py:21:4
	s_endpgm
.Ltmp36:
	.section	.rodata,"a",@progbits
	.p2align	6, 0x0
	.amdhsa_kernel softmax_kernel
		.amdhsa_group_segment_fixed_size 0
		.amdhsa_private_segment_fixed_size 0
		.amdhsa_kernarg_size 48
		.amdhsa_user_sgpr_count 2
		.amdhsa_user_sgpr_dispatch_ptr 0
		.amdhsa_user_sgpr_queue_ptr 0
		.amdhsa_user_sgpr_kernarg_segment_ptr 1
		.amdhsa_user_sgpr_dispatch_id 0
		.amdhsa_user_sgpr_private_segment_size 0
		.amdhsa_wavefront_size32 1
		.amdhsa_uses_dynamic_stack 0
		.amdhsa_enable_private_segment 0
		.amdhsa_system_sgpr_workgroup_id_x 1
		.amdhsa_system_sgpr_workgroup_id_y 1
		.amdhsa_system_sgpr_workgroup_id_z 1
		.amdhsa_system_sgpr_workgroup_info 0
		.amdhsa_system_vgpr_workitem_id 0
		.amdhsa_next_free_vgpr 29
		.amdhsa_next_free_sgpr 14
		.amdhsa_reserve_vcc 1
		.amdhsa_float_round_mode_32 0
		.amdhsa_float_round_mode_16_64 0
		.amdhsa_float_denorm_mode_32 3
		.amdhsa_float_denorm_mode_16_64 3
		.amdhsa_fp16_overflow 0
		.amdhsa_workgroup_processor_mode 1
		.amdhsa_memory_ordered 1
		.amdhsa_forward_progress 1
		.amdhsa_inst_pref_size 15
		.amdhsa_round_robin_scheduling 0
		.amdhsa_exception_fp_ieee_invalid_op 0
		.amdhsa_exception_fp_denorm_src 0
		.amdhsa_exception_fp_ieee_div_zero 0
		.amdhsa_exception_fp_ieee_overflow 0
		.amdhsa_exception_fp_ieee_underflow 0
		.amdhsa_exception_fp_ieee_inexact 0
		.amdhsa_exception_int_div_zero 0
	.end_amdhsa_kernel
	.text
.Lfunc_end0:
	.size	softmax_kernel, .Lfunc_end0-softmax_kernel
	.cfi_endproc
                                        ; -- End function
	.set softmax_kernel.num_vgpr, 29
	.set softmax_kernel.num_agpr, 0
	.set softmax_kernel.numbered_sgpr, 14
	.set softmax_kernel.num_named_barrier, 0
	.set softmax_kernel.private_seg_size, 0
	.set softmax_kernel.uses_vcc, 1
	.set softmax_kernel.uses_flat_scratch, 0
	.set softmax_kernel.has_dyn_sized_stack, 0
	.set softmax_kernel.has_recursion, 0
	.set softmax_kernel.has_indirect_call, 0
	.section	.AMDGPU.csdata,"",@progbits
; Kernel info:
; codeLenInByte = 1860
; TotalNumSgprs: 16
; NumVgprs: 29
; ScratchSize: 0
; MemoryBound: 0
; FloatMode: 240
; IeeeMode: 1
; LDSByteSize: 0 bytes/workgroup (compile time only)
; SGPRBlocks: 0
; VGPRBlocks: 3
; NumSGPRsForWavesPerEU: 16
; NumVGPRsForWavesPerEU: 29
; Occupancy: 16
; WaveLimiterHint : 0
; COMPUTE_PGM_RSRC2:SCRATCH_EN: 0
; COMPUTE_PGM_RSRC2:USER_SGPR: 2
; COMPUTE_PGM_RSRC2:TRAP_HANDLER: 0
; COMPUTE_PGM_RSRC2:TGID_X_EN: 1
; COMPUTE_PGM_RSRC2:TGID_Y_EN: 1
; COMPUTE_PGM_RSRC2:TGID_Z_EN: 1
; COMPUTE_PGM_RSRC2:TIDIG_COMP_CNT: 0
	.text
	.p2alignl 7, 3214868480
	.fill 96, 4, 3214868480
	.section	.AMDGPU.gpr_maximums,"",@progbits
	.set amdgpu.max_num_vgpr, 0
	.set amdgpu.max_num_agpr, 0
	.set amdgpu.max_num_sgpr, 0
	.set amdgpu.max_num_named_barrier, 0
	.text
	.section	.debug_abbrev,"",@progbits
	.byte	1                               ; Abbreviation Code
	.byte	17                              ; DW_TAG_compile_unit
	.byte	1                               ; DW_CHILDREN_yes
	.byte	37                              ; DW_AT_producer
	.byte	14                              ; DW_FORM_strp
	.byte	19                              ; DW_AT_language
	.byte	5                               ; DW_FORM_data2
	.byte	3                               ; DW_AT_name
	.byte	14                              ; DW_FORM_strp
	.byte	16                              ; DW_AT_stmt_list
	.byte	23                              ; DW_FORM_sec_offset
	.byte	27                              ; DW_AT_comp_dir
	.byte	14                              ; DW_FORM_strp
	.byte	17                              ; DW_AT_low_pc
	.byte	1                               ; DW_FORM_addr
	.byte	18                              ; DW_AT_high_pc
	.byte	6                               ; DW_FORM_data4
	.byte	0                               ; EOM(1)
	.byte	0                               ; EOM(2)
	.byte	2                               ; Abbreviation Code
	.byte	46                              ; DW_TAG_subprogram
	.byte	0                               ; DW_CHILDREN_no
	.byte	3                               ; DW_AT_name
	.byte	14                              ; DW_FORM_strp
	.byte	32                              ; DW_AT_inline
	.byte	11                              ; DW_FORM_data1
	.byte	0                               ; EOM(1)
	.byte	0                               ; EOM(2)
	.byte	3                               ; Abbreviation Code
	.byte	46                              ; DW_TAG_subprogram
	.byte	1                               ; DW_CHILDREN_yes
	.byte	17                              ; DW_AT_low_pc
	.byte	1                               ; DW_FORM_addr
	.byte	18                              ; DW_AT_high_pc
	.byte	6                               ; DW_FORM_data4
	.byte	49                              ; DW_AT_abstract_origin
	.byte	19                              ; DW_FORM_ref4
	.byte	0                               ; EOM(1)
	.byte	0                               ; EOM(2)
	.byte	4                               ; Abbreviation Code
	.byte	29                              ; DW_TAG_inlined_subroutine
	.byte	1                               ; DW_CHILDREN_yes
	.byte	49                              ; DW_AT_abstract_origin
	.byte	19                              ; DW_FORM_ref4
	.byte	85                              ; DW_AT_ranges
	.byte	23                              ; DW_FORM_sec_offset
	.byte	88                              ; DW_AT_call_file
	.byte	11                              ; DW_FORM_data1
	.byte	89                              ; DW_AT_call_line
	.byte	11                              ; DW_FORM_data1
	.byte	87                              ; DW_AT_call_column
	.byte	11                              ; DW_FORM_data1
	.byte	0                               ; EOM(1)
	.byte	0                               ; EOM(2)
	.byte	5                               ; Abbreviation Code
	.byte	29                              ; DW_TAG_inlined_subroutine
	.byte	0                               ; DW_CHILDREN_no
	.byte	49                              ; DW_AT_abstract_origin
	.byte	19                              ; DW_FORM_ref4
	.byte	85                              ; DW_AT_ranges
	.byte	23                              ; DW_FORM_sec_offset
	.byte	88                              ; DW_AT_call_file
	.byte	11                              ; DW_FORM_data1
	.byte	89                              ; DW_AT_call_line
	.byte	5                               ; DW_FORM_data2
	.byte	87                              ; DW_AT_call_column
	.byte	11                              ; DW_FORM_data1
	.byte	0                               ; EOM(1)
	.byte	0                               ; EOM(2)
	.byte	6                               ; Abbreviation Code
	.byte	29                              ; DW_TAG_inlined_subroutine
	.byte	0                               ; DW_CHILDREN_no
	.byte	49                              ; DW_AT_abstract_origin
	.byte	19                              ; DW_FORM_ref4
	.byte	85                              ; DW_AT_ranges
	.byte	23                              ; DW_FORM_sec_offset
	.byte	88                              ; DW_AT_call_file
	.byte	11                              ; DW_FORM_data1
	.byte	89                              ; DW_AT_call_line
	.byte	11                              ; DW_FORM_data1
	.byte	87                              ; DW_AT_call_column
	.byte	11                              ; DW_FORM_data1
	.byte	0                               ; EOM(1)
	.byte	0                               ; EOM(2)
	;; [unrolled: 1-line block ×3, first 2 shown]
	.section	.debug_info,"",@progbits
.Lcu_begin0:
	.long	.Ldebug_info_end0-.Ldebug_info_start0 ; Length of Unit
.Ldebug_info_start0:
	.short	4                               ; DWARF version number
	.long	.debug_abbrev                   ; Offset Into Abbrev. Section
	.byte	8                               ; Address Size (in bytes)
	.byte	1                               ; Abbrev [1] 0xb:0x6b DW_TAG_compile_unit
	.long	.Linfo_string0                  ; DW_AT_producer
	.short	2                               ; DW_AT_language
	.long	.Linfo_string1                  ; DW_AT_name
	.long	.Lline_table_start0             ; DW_AT_stmt_list
	.long	.Linfo_string2                  ; DW_AT_comp_dir
	.quad	.Lfunc_begin0                   ; DW_AT_low_pc
	.long	.Lfunc_end0-.Lfunc_begin0       ; DW_AT_high_pc
	.byte	2                               ; Abbrev [2] 0x2a:0x6 DW_TAG_subprogram
	.long	.Linfo_string3                  ; DW_AT_name
	.byte	1                               ; DW_AT_inline
	.byte	3                               ; Abbrev [3] 0x30:0x45 DW_TAG_subprogram
	.quad	.Lfunc_begin0                   ; DW_AT_low_pc
	.long	.Lfunc_end0-.Lfunc_begin0       ; DW_AT_high_pc
	.long	42                              ; DW_AT_abstract_origin
	.byte	4                               ; Abbrev [4] 0x41:0x1a DW_TAG_inlined_subroutine
	.long	42                              ; DW_AT_abstract_origin
	.long	.Ldebug_ranges0                 ; DW_AT_ranges
	.byte	1                               ; DW_AT_call_file
	.byte	17                              ; DW_AT_call_line
	.byte	25                              ; DW_AT_call_column
	.byte	5                               ; Abbrev [5] 0x4d:0xd DW_TAG_inlined_subroutine
	.long	42                              ; DW_AT_abstract_origin
	.long	.Ldebug_ranges1                 ; DW_AT_ranges
	.byte	2                               ; DW_AT_call_file
	.short	293                             ; DW_AT_call_line
	.byte	36                              ; DW_AT_call_column
	.byte	0                               ; End Of Children Mark
	.byte	4                               ; Abbrev [4] 0x5b:0x19 DW_TAG_inlined_subroutine
	.long	42                              ; DW_AT_abstract_origin
	.long	.Ldebug_ranges2                 ; DW_AT_ranges
	.byte	1                               ; DW_AT_call_file
	.byte	15                              ; DW_AT_call_line
	.byte	33                              ; DW_AT_call_column
	.byte	6                               ; Abbrev [6] 0x67:0xc DW_TAG_inlined_subroutine
	.long	42                              ; DW_AT_abstract_origin
	.long	.Ldebug_ranges3                 ; DW_AT_ranges
	.byte	2                               ; DW_AT_call_file
	.byte	191                             ; DW_AT_call_line
	.byte	40                              ; DW_AT_call_column
	.byte	0                               ; End Of Children Mark
	.byte	0                               ; End Of Children Mark
	.byte	0                               ; End Of Children Mark
.Ldebug_info_end0:
	.section	.debug_ranges,"",@progbits
.Ldebug_ranges0:
	.quad	.Ltmp1-.Lfunc_begin0
	.quad	.Ltmp2-.Lfunc_begin0
	;; [unrolled: 1-line block ×8, first 2 shown]
	.quad	0
	.quad	0
.Ldebug_ranges1:
	.quad	.Ltmp25-.Lfunc_begin0
	.quad	.Ltmp26-.Lfunc_begin0
	;; [unrolled: 1-line block ×8, first 2 shown]
	.quad	0
	.quad	0
.Ldebug_ranges2:
	.quad	.Ltmp3-.Lfunc_begin0
	.quad	.Ltmp4-.Lfunc_begin0
	;; [unrolled: 1-line block ×4, first 2 shown]
	.quad	0
	.quad	0
.Ldebug_ranges3:
	.quad	.Ltmp6-.Lfunc_begin0
	.quad	.Ltmp7-.Lfunc_begin0
	.quad	.Ltmp8-.Lfunc_begin0
	.quad	.Ltmp9-.Lfunc_begin0
	.quad	.Ltmp10-.Lfunc_begin0
	.quad	.Ltmp11-.Lfunc_begin0
	.quad	.Ltmp12-.Lfunc_begin0
	.quad	.Ltmp13-.Lfunc_begin0
	.quad	.Ltmp14-.Lfunc_begin0
	.quad	.Ltmp15-.Lfunc_begin0
	.quad	.Ltmp16-.Lfunc_begin0
	.quad	.Ltmp17-.Lfunc_begin0
	.quad	.Ltmp18-.Lfunc_begin0
	.quad	.Ltmp19-.Lfunc_begin0
	.quad	.Ltmp20-.Lfunc_begin0
	.quad	.Ltmp21-.Lfunc_begin0
	.quad	.Ltmp22-.Lfunc_begin0
	.quad	.Ltmp23-.Lfunc_begin0
	.quad	0
	.quad	0
	.section	.debug_str,"MS",@progbits,1
.Linfo_string0:
	.asciz	"triton"                        ; string offset=0
.Linfo_string1:
	.asciz	"softmax.py"                    ; string offset=7
.Linfo_string2:
	.asciz	"/root/src/amdgpu-assembly/repos/triton-lang__triton-aot" ; string offset=18
.Linfo_string3:
	.asciz	"softmax_kernel"                ; string offset=74
	.section	".note.GNU-stack","",@progbits
	.amdgpu_metadata
---
amdhsa.kernels:
  - .args:
      - .address_space:  global
        .offset:         0
        .size:           8
        .value_kind:     global_buffer
      - .address_space:  global
        .offset:         8
        .size:           8
        .value_kind:     global_buffer
      - .offset:         16
        .size:           4
        .value_kind:     by_value
      - .offset:         20
        .size:           4
        .value_kind:     by_value
      - .offset:         24
        .size:           4
        .value_kind:     by_value
      - .offset:         28
        .size:           4
        .value_kind:     by_value
      - .address_space:  global
        .offset:         32
        .size:           8
        .value_kind:     global_buffer
      - .address_space:  global
        .offset:         40
        .size:           8
        .value_kind:     global_buffer
    .group_segment_fixed_size: 0
    .kernarg_segment_align: 8
    .kernarg_segment_size: 48
    .max_flat_workgroup_size: 128
    .name:           softmax_kernel
    .private_segment_fixed_size: 0
    .sgpr_count:     16
    .sgpr_spill_count: 0
    .symbol:         softmax_kernel.kd
    .uniform_work_group_size: 1
    .uses_dynamic_stack: false
    .vgpr_count:     29
    .vgpr_spill_count: 0
    .wavefront_size: 32
    .workgroup_processor_mode: 1
amdhsa.target:   amdgcn-amd-amdhsa--gfx1201
amdhsa.version:
  - 1
  - 2
...

	.end_amdgpu_metadata
	.section	.debug_line,"",@progbits
.Lline_table_start0:
